;; amdgpu-corpus repo=ROCm/rocFFT kind=compiled arch=gfx1030 opt=O3
	.text
	.amdgcn_target "amdgcn-amd-amdhsa--gfx1030"
	.amdhsa_code_object_version 6
	.protected	fft_rtc_fwd_len264_factors_8_3_11_wgs_231_tpt_33_dp_ip_CI_unitstride_sbrr_C2R_dirReg ; -- Begin function fft_rtc_fwd_len264_factors_8_3_11_wgs_231_tpt_33_dp_ip_CI_unitstride_sbrr_C2R_dirReg
	.globl	fft_rtc_fwd_len264_factors_8_3_11_wgs_231_tpt_33_dp_ip_CI_unitstride_sbrr_C2R_dirReg
	.p2align	8
	.type	fft_rtc_fwd_len264_factors_8_3_11_wgs_231_tpt_33_dp_ip_CI_unitstride_sbrr_C2R_dirReg,@function
fft_rtc_fwd_len264_factors_8_3_11_wgs_231_tpt_33_dp_ip_CI_unitstride_sbrr_C2R_dirReg: ; @fft_rtc_fwd_len264_factors_8_3_11_wgs_231_tpt_33_dp_ip_CI_unitstride_sbrr_C2R_dirReg
; %bb.0:
	s_load_dwordx4 s[8:11], s[4:5], 0x0
	v_mul_u32_u24_e32 v1, 0x7c2, v0
	s_clause 0x1
	s_load_dwordx2 s[2:3], s[4:5], 0x50
	s_load_dwordx2 s[12:13], s[4:5], 0x18
	v_mov_b32_e32 v5, 0
	v_mov_b32_e32 v3, 0
	;; [unrolled: 1-line block ×3, first 2 shown]
	v_lshrrev_b32_e32 v1, 16, v1
	v_mad_u64_u32 v[1:2], null, s6, 7, v[1:2]
	v_mov_b32_e32 v2, v5
	v_mov_b32_e32 v10, v2
	;; [unrolled: 1-line block ×3, first 2 shown]
	s_waitcnt lgkmcnt(0)
	v_cmp_lt_u64_e64 s0, s[10:11], 2
	s_and_b32 vcc_lo, exec_lo, s0
	s_cbranch_vccnz .LBB0_8
; %bb.1:
	s_load_dwordx2 s[0:1], s[4:5], 0x10
	v_mov_b32_e32 v3, 0
	v_mov_b32_e32 v8, v2
	s_add_u32 s6, s12, 8
	v_mov_b32_e32 v4, 0
	v_mov_b32_e32 v7, v1
	s_addc_u32 s7, s13, 0
	s_mov_b64 s[16:17], 1
	s_waitcnt lgkmcnt(0)
	s_add_u32 s14, s0, 8
	s_addc_u32 s15, s1, 0
.LBB0_2:                                ; =>This Inner Loop Header: Depth=1
	s_load_dwordx2 s[18:19], s[14:15], 0x0
                                        ; implicit-def: $vgpr9_vgpr10
	s_mov_b32 s0, exec_lo
	s_waitcnt lgkmcnt(0)
	v_or_b32_e32 v6, s19, v8
	v_cmpx_ne_u64_e32 0, v[5:6]
	s_xor_b32 s1, exec_lo, s0
	s_cbranch_execz .LBB0_4
; %bb.3:                                ;   in Loop: Header=BB0_2 Depth=1
	v_cvt_f32_u32_e32 v2, s18
	v_cvt_f32_u32_e32 v6, s19
	s_sub_u32 s0, 0, s18
	s_subb_u32 s20, 0, s19
	v_fmac_f32_e32 v2, 0x4f800000, v6
	v_rcp_f32_e32 v2, v2
	v_mul_f32_e32 v2, 0x5f7ffffc, v2
	v_mul_f32_e32 v6, 0x2f800000, v2
	v_trunc_f32_e32 v6, v6
	v_fmac_f32_e32 v2, 0xcf800000, v6
	v_cvt_u32_f32_e32 v6, v6
	v_cvt_u32_f32_e32 v2, v2
	v_mul_lo_u32 v9, s0, v6
	v_mul_hi_u32 v10, s0, v2
	v_mul_lo_u32 v11, s20, v2
	v_add_nc_u32_e32 v9, v10, v9
	v_mul_lo_u32 v10, s0, v2
	v_add_nc_u32_e32 v9, v9, v11
	v_mul_hi_u32 v11, v2, v10
	v_mul_lo_u32 v12, v2, v9
	v_mul_hi_u32 v13, v2, v9
	v_mul_hi_u32 v14, v6, v10
	v_mul_lo_u32 v10, v6, v10
	v_mul_hi_u32 v15, v6, v9
	v_mul_lo_u32 v9, v6, v9
	v_add_co_u32 v11, vcc_lo, v11, v12
	v_add_co_ci_u32_e32 v12, vcc_lo, 0, v13, vcc_lo
	v_add_co_u32 v10, vcc_lo, v11, v10
	v_add_co_ci_u32_e32 v10, vcc_lo, v12, v14, vcc_lo
	v_add_co_ci_u32_e32 v11, vcc_lo, 0, v15, vcc_lo
	v_add_co_u32 v9, vcc_lo, v10, v9
	v_add_co_ci_u32_e32 v10, vcc_lo, 0, v11, vcc_lo
	v_add_co_u32 v2, vcc_lo, v2, v9
	v_add_co_ci_u32_e32 v6, vcc_lo, v6, v10, vcc_lo
	v_mul_hi_u32 v9, s0, v2
	v_mul_lo_u32 v11, s20, v2
	v_mul_lo_u32 v10, s0, v6
	v_add_nc_u32_e32 v9, v9, v10
	v_mul_lo_u32 v10, s0, v2
	v_add_nc_u32_e32 v9, v9, v11
	v_mul_hi_u32 v11, v2, v10
	v_mul_lo_u32 v12, v2, v9
	v_mul_hi_u32 v13, v2, v9
	v_mul_hi_u32 v14, v6, v10
	v_mul_lo_u32 v10, v6, v10
	v_mul_hi_u32 v15, v6, v9
	v_mul_lo_u32 v9, v6, v9
	v_add_co_u32 v11, vcc_lo, v11, v12
	v_add_co_ci_u32_e32 v12, vcc_lo, 0, v13, vcc_lo
	v_add_co_u32 v10, vcc_lo, v11, v10
	v_add_co_ci_u32_e32 v10, vcc_lo, v12, v14, vcc_lo
	v_add_co_ci_u32_e32 v11, vcc_lo, 0, v15, vcc_lo
	v_add_co_u32 v9, vcc_lo, v10, v9
	v_add_co_ci_u32_e32 v10, vcc_lo, 0, v11, vcc_lo
	v_add_co_u32 v2, vcc_lo, v2, v9
	v_add_co_ci_u32_e32 v6, vcc_lo, v6, v10, vcc_lo
	v_mul_hi_u32 v15, v7, v2
	v_mad_u64_u32 v[11:12], null, v8, v2, 0
	v_mad_u64_u32 v[9:10], null, v7, v6, 0
	v_mad_u64_u32 v[13:14], null, v8, v6, 0
	v_add_co_u32 v2, vcc_lo, v15, v9
	v_add_co_ci_u32_e32 v6, vcc_lo, 0, v10, vcc_lo
	v_add_co_u32 v2, vcc_lo, v2, v11
	v_add_co_ci_u32_e32 v2, vcc_lo, v6, v12, vcc_lo
	v_add_co_ci_u32_e32 v6, vcc_lo, 0, v14, vcc_lo
	v_add_co_u32 v2, vcc_lo, v2, v13
	v_add_co_ci_u32_e32 v6, vcc_lo, 0, v6, vcc_lo
	v_mul_lo_u32 v11, s19, v2
	v_mad_u64_u32 v[9:10], null, s18, v2, 0
	v_mul_lo_u32 v12, s18, v6
	v_sub_co_u32 v9, vcc_lo, v7, v9
	v_add3_u32 v10, v10, v12, v11
	v_sub_nc_u32_e32 v11, v8, v10
	v_subrev_co_ci_u32_e64 v11, s0, s19, v11, vcc_lo
	v_add_co_u32 v12, s0, v2, 2
	v_add_co_ci_u32_e64 v13, s0, 0, v6, s0
	v_sub_co_u32 v14, s0, v9, s18
	v_sub_co_ci_u32_e32 v10, vcc_lo, v8, v10, vcc_lo
	v_subrev_co_ci_u32_e64 v11, s0, 0, v11, s0
	v_cmp_le_u32_e32 vcc_lo, s18, v14
	v_cmp_eq_u32_e64 s0, s19, v10
	v_cndmask_b32_e64 v14, 0, -1, vcc_lo
	v_cmp_le_u32_e32 vcc_lo, s19, v11
	v_cndmask_b32_e64 v15, 0, -1, vcc_lo
	v_cmp_le_u32_e32 vcc_lo, s18, v9
	;; [unrolled: 2-line block ×3, first 2 shown]
	v_cndmask_b32_e64 v16, 0, -1, vcc_lo
	v_cmp_eq_u32_e32 vcc_lo, s19, v11
	v_cndmask_b32_e64 v9, v16, v9, s0
	v_cndmask_b32_e32 v11, v15, v14, vcc_lo
	v_add_co_u32 v14, vcc_lo, v2, 1
	v_add_co_ci_u32_e32 v15, vcc_lo, 0, v6, vcc_lo
	v_cmp_ne_u32_e32 vcc_lo, 0, v11
	v_cndmask_b32_e32 v10, v15, v13, vcc_lo
	v_cndmask_b32_e32 v11, v14, v12, vcc_lo
	v_cmp_ne_u32_e32 vcc_lo, 0, v9
	v_cndmask_b32_e32 v10, v6, v10, vcc_lo
	v_cndmask_b32_e32 v9, v2, v11, vcc_lo
.LBB0_4:                                ;   in Loop: Header=BB0_2 Depth=1
	s_andn2_saveexec_b32 s0, s1
	s_cbranch_execz .LBB0_6
; %bb.5:                                ;   in Loop: Header=BB0_2 Depth=1
	v_cvt_f32_u32_e32 v2, s18
	s_sub_i32 s1, 0, s18
	v_rcp_iflag_f32_e32 v2, v2
	v_mul_f32_e32 v2, 0x4f7ffffe, v2
	v_cvt_u32_f32_e32 v2, v2
	v_mul_lo_u32 v6, s1, v2
	v_mul_hi_u32 v6, v2, v6
	v_add_nc_u32_e32 v2, v2, v6
	v_mul_hi_u32 v2, v7, v2
	v_mul_lo_u32 v6, v2, s18
	v_add_nc_u32_e32 v9, 1, v2
	v_sub_nc_u32_e32 v6, v7, v6
	v_subrev_nc_u32_e32 v10, s18, v6
	v_cmp_le_u32_e32 vcc_lo, s18, v6
	v_cndmask_b32_e32 v6, v6, v10, vcc_lo
	v_cndmask_b32_e32 v2, v2, v9, vcc_lo
	v_mov_b32_e32 v10, v5
	v_cmp_le_u32_e32 vcc_lo, s18, v6
	v_add_nc_u32_e32 v9, 1, v2
	v_cndmask_b32_e32 v9, v2, v9, vcc_lo
.LBB0_6:                                ;   in Loop: Header=BB0_2 Depth=1
	s_or_b32 exec_lo, exec_lo, s0
	s_load_dwordx2 s[0:1], s[6:7], 0x0
	v_mul_lo_u32 v2, v10, s18
	v_mul_lo_u32 v6, v9, s19
	v_mad_u64_u32 v[11:12], null, v9, s18, 0
	s_add_u32 s16, s16, 1
	s_addc_u32 s17, s17, 0
	s_add_u32 s6, s6, 8
	s_addc_u32 s7, s7, 0
	;; [unrolled: 2-line block ×3, first 2 shown]
	v_add3_u32 v2, v12, v6, v2
	v_sub_co_u32 v6, vcc_lo, v7, v11
	v_sub_co_ci_u32_e32 v2, vcc_lo, v8, v2, vcc_lo
	s_waitcnt lgkmcnt(0)
	v_mul_lo_u32 v7, s1, v6
	v_mul_lo_u32 v2, s0, v2
	v_mad_u64_u32 v[3:4], null, s0, v6, v[3:4]
	v_cmp_ge_u64_e64 s0, s[16:17], s[10:11]
	s_and_b32 vcc_lo, exec_lo, s0
	v_add3_u32 v4, v7, v4, v2
	s_cbranch_vccnz .LBB0_8
; %bb.7:                                ;   in Loop: Header=BB0_2 Depth=1
	v_mov_b32_e32 v7, v9
	v_mov_b32_e32 v8, v10
	s_branch .LBB0_2
.LBB0_8:
	v_mul_hi_u32 v2, 0x24924925, v1
	s_lshl_b64 s[0:1], s[10:11], 3
	s_load_dwordx2 s[4:5], s[4:5], 0x20
	s_add_u32 s0, s12, s0
	s_addc_u32 s1, s13, s1
	v_mul_hi_u32 v8, 0x7c1f07d, v0
	s_load_dwordx2 s[0:1], s[0:1], 0x0
	v_sub_nc_u32_e32 v5, v1, v2
	v_lshrrev_b32_e32 v5, 1, v5
	v_add_nc_u32_e32 v2, v5, v2
	s_waitcnt lgkmcnt(0)
	v_cmp_gt_u64_e32 vcc_lo, s[4:5], v[9:10]
	v_lshrrev_b32_e32 v2, 2, v2
	v_mul_lo_u32 v5, s0, v10
	v_mul_lo_u32 v7, s1, v9
	;; [unrolled: 1-line block ×3, first 2 shown]
	v_mad_u64_u32 v[2:3], null, s0, v9, v[3:4]
	v_mul_u32_u24_e32 v4, 33, v8
	v_sub_nc_u32_e32 v52, v0, v4
	v_sub_nc_u32_e32 v1, v1, v6
	v_add3_u32 v3, v7, v3, v5
	v_mul_u32_u24_e32 v1, 0x109, v1
	v_lshlrev_b64 v[54:55], 4, v[2:3]
	v_lshlrev_b32_e32 v40, 4, v1
	s_and_saveexec_b32 s1, vcc_lo
	s_cbranch_execz .LBB0_12
; %bb.9:
	v_mov_b32_e32 v53, 0
	v_add_co_u32 v0, s0, s2, v54
	v_add_co_ci_u32_e64 v2, s0, s3, v55, s0
	v_lshlrev_b64 v[3:4], 4, v[52:53]
	s_mov_b32 s4, exec_lo
	v_add_co_u32 v16, s0, v0, v3
	v_add_co_ci_u32_e64 v17, s0, v2, v4, s0
	v_lshlrev_b32_e32 v3, 4, v52
	v_add_co_u32 v32, s0, 0x800, v16
	v_add_co_ci_u32_e64 v33, s0, 0, v17, s0
	s_clause 0x7
	global_load_dwordx4 v[4:7], v[16:17], off
	global_load_dwordx4 v[8:11], v[16:17], off offset:528
	global_load_dwordx4 v[12:15], v[16:17], off offset:1056
	;; [unrolled: 1-line block ×7, first 2 shown]
	v_add3_u32 v3, 0, v40, v3
	s_waitcnt vmcnt(7)
	ds_write_b128 v3, v[4:7]
	s_waitcnt vmcnt(6)
	ds_write_b128 v3, v[8:11] offset:528
	s_waitcnt vmcnt(5)
	ds_write_b128 v3, v[12:15] offset:1056
	;; [unrolled: 2-line block ×7, first 2 shown]
	v_cmpx_eq_u32_e32 32, v52
	s_cbranch_execz .LBB0_11
; %bb.10:
	v_add_co_u32 v4, s0, 0x1000, v0
	v_add_co_ci_u32_e64 v5, s0, 0, v2, s0
	v_mov_b32_e32 v52, 32
	global_load_dwordx4 v[4:7], v[4:5], off offset:128
	s_waitcnt vmcnt(0)
	ds_write_b128 v3, v[4:7] offset:3712
.LBB0_11:
	s_or_b32 exec_lo, exec_lo, s4
.LBB0_12:
	s_or_b32 exec_lo, exec_lo, s1
	v_lshl_add_u32 v56, v1, 4, 0
	v_lshlrev_b32_e32 v6, 4, v52
	s_waitcnt lgkmcnt(0)
	s_barrier
	buffer_gl0_inv
	s_add_u32 s1, s8, 0x1000
	v_add_nc_u32_e32 v57, v56, v6
	v_sub_nc_u32_e32 v7, v56, v6
	s_addc_u32 s4, s9, 0
	s_mov_b32 s5, exec_lo
	ds_read_b64 v[2:3], v57
	ds_read_b64 v[4:5], v7 offset:4224
	s_waitcnt lgkmcnt(0)
	v_add_f64 v[0:1], v[2:3], v[4:5]
	v_add_f64 v[2:3], v[2:3], -v[4:5]
                                        ; implicit-def: $vgpr4_vgpr5
	v_cmpx_ne_u32_e32 0, v52
	s_xor_b32 s5, exec_lo, s5
	s_cbranch_execz .LBB0_14
; %bb.13:
	v_mov_b32_e32 v53, 0
	v_lshlrev_b64 v[4:5], 4, v[52:53]
	v_add_co_u32 v4, s0, s1, v4
	v_add_co_ci_u32_e64 v5, s0, s4, v5, s0
	global_load_dwordx4 v[8:11], v[4:5], off
	ds_read_b64 v[4:5], v7 offset:4232
	ds_read_b64 v[12:13], v57 offset:8
	s_waitcnt lgkmcnt(0)
	v_add_f64 v[14:15], v[4:5], v[12:13]
	v_add_f64 v[4:5], v[12:13], -v[4:5]
	s_waitcnt vmcnt(0)
	v_fma_f64 v[12:13], v[2:3], v[10:11], v[0:1]
	v_fma_f64 v[16:17], v[14:15], v[10:11], v[4:5]
	v_fma_f64 v[0:1], -v[2:3], v[10:11], v[0:1]
	v_fma_f64 v[4:5], v[14:15], v[10:11], -v[4:5]
	v_fma_f64 v[10:11], -v[14:15], v[8:9], v[12:13]
	v_fma_f64 v[12:13], v[2:3], v[8:9], v[16:17]
	v_fma_f64 v[0:1], v[14:15], v[8:9], v[0:1]
	;; [unrolled: 1-line block ×3, first 2 shown]
	v_mov_b32_e32 v4, v52
	v_mov_b32_e32 v5, v53
	ds_write_b128 v57, v[10:13]
	ds_write_b128 v7, v[0:3] offset:4224
                                        ; implicit-def: $vgpr0_vgpr1
.LBB0_14:
	s_andn2_saveexec_b32 s0, s5
	s_cbranch_execz .LBB0_16
; %bb.15:
	ds_write_b128 v57, v[0:3]
	ds_read_b128 v[0:3], v56 offset:2112
	v_mov_b32_e32 v4, 0
	v_mov_b32_e32 v5, 0
	s_waitcnt lgkmcnt(0)
	v_add_f64 v[0:1], v[0:1], v[0:1]
	v_mul_f64 v[2:3], v[2:3], -2.0
	ds_write_b128 v56, v[0:3] offset:2112
.LBB0_16:
	s_or_b32 exec_lo, exec_lo, s0
	v_lshlrev_b64 v[0:1], 4, v[4:5]
	v_add3_u32 v53, 0, v6, v40
	s_mov_b32 s5, 0x3fe6a09e
	v_add_co_u32 v4, s0, s1, v0
	v_add_co_ci_u32_e64 v5, s0, s4, v1, s0
	s_mov_b32 s0, 0x667f3bcd
	s_mov_b32 s1, 0xbfe6a09e
	;; [unrolled: 1-line block ×3, first 2 shown]
	s_clause 0x2
	global_load_dwordx4 v[0:3], v[4:5], off offset:528
	global_load_dwordx4 v[8:11], v[4:5], off offset:1056
	;; [unrolled: 1-line block ×3, first 2 shown]
	ds_read_b128 v[16:19], v57 offset:528
	ds_read_b128 v[20:23], v7 offset:3696
	s_waitcnt lgkmcnt(0)
	v_add_f64 v[4:5], v[16:17], v[20:21]
	v_add_f64 v[24:25], v[22:23], v[18:19]
	v_add_f64 v[20:21], v[16:17], -v[20:21]
	v_add_f64 v[16:17], v[18:19], -v[22:23]
	s_waitcnt vmcnt(2)
	v_fma_f64 v[18:19], v[20:21], v[2:3], v[4:5]
	v_fma_f64 v[22:23], v[24:25], v[2:3], v[16:17]
	v_fma_f64 v[26:27], -v[20:21], v[2:3], v[4:5]
	v_fma_f64 v[28:29], v[24:25], v[2:3], -v[16:17]
	v_fma_f64 v[2:3], -v[24:25], v[0:1], v[18:19]
	v_fma_f64 v[4:5], v[20:21], v[0:1], v[22:23]
	v_fma_f64 v[16:17], v[24:25], v[0:1], v[26:27]
	v_fma_f64 v[18:19], v[20:21], v[0:1], v[28:29]
	ds_write_b128 v57, v[2:5] offset:528
	ds_write_b128 v7, v[16:19] offset:3696
	ds_read_b128 v[0:3], v57 offset:1056
	ds_read_b128 v[16:19], v7 offset:3168
	s_waitcnt lgkmcnt(0)
	v_add_f64 v[4:5], v[0:1], v[16:17]
	v_add_f64 v[20:21], v[18:19], v[2:3]
	v_add_f64 v[22:23], v[0:1], -v[16:17]
	v_add_f64 v[0:1], v[2:3], -v[18:19]
	s_waitcnt vmcnt(1)
	v_fma_f64 v[2:3], v[22:23], v[10:11], v[4:5]
	v_fma_f64 v[16:17], v[20:21], v[10:11], v[0:1]
	v_fma_f64 v[4:5], -v[22:23], v[10:11], v[4:5]
	v_fma_f64 v[10:11], v[20:21], v[10:11], -v[0:1]
	v_fma_f64 v[0:1], -v[20:21], v[8:9], v[2:3]
	v_fma_f64 v[2:3], v[22:23], v[8:9], v[16:17]
	v_fma_f64 v[16:17], v[20:21], v[8:9], v[4:5]
	v_fma_f64 v[18:19], v[22:23], v[8:9], v[10:11]
	ds_write_b128 v57, v[0:3] offset:1056
	ds_write_b128 v7, v[16:19] offset:3168
	;; [unrolled: 18-line block ×3, first 2 shown]
	s_waitcnt lgkmcnt(0)
	s_barrier
	buffer_gl0_inv
	s_barrier
	buffer_gl0_inv
	ds_read_b128 v[0:3], v53 offset:2112
	ds_read_b128 v[4:7], v57
	ds_read_b128 v[8:11], v53 offset:1056
	ds_read_b128 v[12:15], v53 offset:3168
	;; [unrolled: 1-line block ×6, first 2 shown]
	s_waitcnt lgkmcnt(0)
	s_barrier
	buffer_gl0_inv
	v_add_f64 v[0:1], v[4:5], -v[0:1]
	v_add_f64 v[2:3], v[6:7], -v[2:3]
	v_add_f64 v[12:13], v[8:9], -v[12:13]
	v_add_f64 v[14:15], v[10:11], -v[14:15]
	v_add_f64 v[20:21], v[16:17], -v[20:21]
	v_add_f64 v[22:23], v[18:19], -v[22:23]
	v_add_f64 v[28:29], v[24:25], -v[28:29]
	v_add_f64 v[30:31], v[26:27], -v[30:31]
	v_fma_f64 v[4:5], v[4:5], 2.0, -v[0:1]
	v_fma_f64 v[6:7], v[6:7], 2.0, -v[2:3]
	;; [unrolled: 1-line block ×6, first 2 shown]
	v_add_f64 v[32:33], v[0:1], -v[14:15]
	v_add_f64 v[34:35], v[2:3], v[12:13]
	v_fma_f64 v[12:13], v[24:25], 2.0, -v[28:29]
	v_fma_f64 v[14:15], v[26:27], 2.0, -v[30:31]
	v_add_f64 v[24:25], v[20:21], -v[30:31]
	v_add_f64 v[26:27], v[22:23], v[28:29]
	v_add_f64 v[28:29], v[4:5], -v[8:9]
	v_add_f64 v[30:31], v[6:7], -v[10:11]
	v_fma_f64 v[36:37], v[0:1], 2.0, -v[32:33]
	v_fma_f64 v[38:39], v[2:3], 2.0, -v[34:35]
	v_add_f64 v[2:3], v[16:17], -v[12:13]
	v_add_f64 v[0:1], v[18:19], -v[14:15]
	v_fma_f64 v[10:11], v[20:21], 2.0, -v[24:25]
	v_fma_f64 v[8:9], v[22:23], 2.0, -v[26:27]
	v_fma_f64 v[12:13], v[24:25], s[4:5], v[32:33]
	v_fma_f64 v[14:15], v[26:27], s[4:5], v[34:35]
	v_fma_f64 v[41:42], v[4:5], 2.0, -v[28:29]
	v_fma_f64 v[43:44], v[6:7], 2.0, -v[30:31]
	;; [unrolled: 1-line block ×4, first 2 shown]
	v_fma_f64 v[16:17], v[10:11], s[0:1], v[36:37]
	v_fma_f64 v[18:19], v[8:9], s[0:1], v[38:39]
	v_add_f64 v[0:1], v[28:29], -v[0:1]
	v_add_f64 v[2:3], v[30:31], v[2:3]
	v_fma_f64 v[12:13], v[26:27], s[0:1], v[12:13]
	v_fma_f64 v[14:15], v[24:25], s[4:5], v[14:15]
	v_add_f64 v[4:5], v[41:42], -v[4:5]
	v_add_f64 v[6:7], v[43:44], -v[6:7]
	v_fma_f64 v[8:9], v[8:9], s[0:1], v[16:17]
	v_fma_f64 v[10:11], v[10:11], s[4:5], v[18:19]
	v_fma_f64 v[16:17], v[28:29], 2.0, -v[0:1]
	v_fma_f64 v[18:19], v[30:31], 2.0, -v[2:3]
	;; [unrolled: 1-line block ×4, first 2 shown]
	v_mad_u32_u24 v32, 0x70, v52, v53
	v_cmp_gt_u32_e64 s0, 22, v52
                                        ; implicit-def: $vgpr34_vgpr35
	v_fma_f64 v[24:25], v[41:42], 2.0, -v[4:5]
	v_fma_f64 v[26:27], v[43:44], 2.0, -v[6:7]
	;; [unrolled: 1-line block ×4, first 2 shown]
	ds_write_b128 v32, v[0:3] offset:96
	ds_write_b128 v32, v[12:15] offset:112
	;; [unrolled: 1-line block ×6, first 2 shown]
	ds_write_b128 v32, v[24:27]
	ds_write_b128 v32, v[28:31] offset:16
	s_waitcnt lgkmcnt(0)
	s_barrier
	buffer_gl0_inv
	ds_read_b128 v[8:11], v57
	ds_read_b128 v[4:7], v53 offset:528
	ds_read_b128 v[24:27], v53 offset:1408
	;; [unrolled: 1-line block ×5, first 2 shown]
	s_and_saveexec_b32 s1, s0
	s_cbranch_execz .LBB0_18
; %bb.17:
	ds_read_b128 v[0:3], v53 offset:1056
	ds_read_b128 v[12:15], v53 offset:2464
	;; [unrolled: 1-line block ×3, first 2 shown]
.LBB0_18:
	s_or_b32 exec_lo, exec_lo, s1
	v_add_nc_u32_e32 v51, 33, v52
	v_add_nc_u32_e32 v41, 0x42, v52
	v_and_b32_e32 v82, 7, v52
	s_mov_b32 s4, 0xe8584caa
	s_mov_b32 s5, 0x3febb67a
	v_and_b32_e32 v83, 7, v51
	v_and_b32_e32 v42, 7, v41
	v_lshlrev_b32_e32 v43, 5, v82
	s_mov_b32 s7, 0xbfebb67a
	s_mov_b32 s6, s4
	v_lshlrev_b32_e32 v58, 5, v83
	v_lshlrev_b32_e32 v66, 5, v42
	s_clause 0x1
	global_load_dwordx4 v[36:39], v43, s[8:9]
	global_load_dwordx4 v[43:46], v43, s[8:9] offset:16
	v_lshrrev_b32_e32 v51, 3, v51
	s_clause 0x3
	global_load_dwordx4 v[47:50], v58, s[8:9]
	global_load_dwordx4 v[58:61], v58, s[8:9] offset:16
	global_load_dwordx4 v[62:65], v66, s[8:9]
	global_load_dwordx4 v[66:69], v66, s[8:9] offset:16
	s_waitcnt vmcnt(0) lgkmcnt(0)
	s_barrier
	v_mul_u32_u24_e32 v51, 24, v51
	buffer_gl0_inv
	v_mul_f64 v[70:71], v[26:27], v[38:39]
	v_mul_f64 v[38:39], v[24:25], v[38:39]
	;; [unrolled: 1-line block ×12, first 2 shown]
	v_fma_f64 v[24:25], v[24:25], v[36:37], -v[70:71]
	v_fma_f64 v[26:27], v[26:27], v[36:37], v[38:39]
	v_fma_f64 v[28:29], v[28:29], v[43:44], -v[72:73]
	v_fma_f64 v[30:31], v[30:31], v[43:44], v[45:46]
	;; [unrolled: 2-line block ×6, first 2 shown]
	v_lshrrev_b32_e32 v74, 3, v52
	v_mul_u32_u24_e32 v74, 24, v74
	v_add_f64 v[58:59], v[8:9], v[24:25]
	v_add_f64 v[60:61], v[10:11], v[26:27]
	;; [unrolled: 1-line block ×4, first 2 shown]
	v_add_f64 v[26:27], v[26:27], -v[30:31]
	v_add_f64 v[24:25], v[24:25], -v[28:29]
	v_add_f64 v[43:44], v[16:17], v[20:21]
	v_add_f64 v[45:46], v[18:19], v[22:23]
	;; [unrolled: 1-line block ×8, first 2 shown]
	v_add_f64 v[18:19], v[18:19], -v[22:23]
	v_add_f64 v[16:17], v[16:17], -v[20:21]
	;; [unrolled: 1-line block ×4, first 2 shown]
	v_fma_f64 v[36:37], v[36:37], -0.5, v[8:9]
	v_fma_f64 v[38:39], v[38:39], -0.5, v[10:11]
	;; [unrolled: 1-line block ×4, first 2 shown]
	v_add_f64 v[12:13], v[62:63], v[20:21]
	v_add_f64 v[14:15], v[64:65], v[22:23]
	v_fma_f64 v[47:48], v[47:48], -0.5, v[0:1]
	v_fma_f64 v[49:50], v[49:50], -0.5, v[2:3]
	v_add_f64 v[0:1], v[58:59], v[28:29]
	v_add_f64 v[2:3], v[60:61], v[30:31]
	;; [unrolled: 1-line block ×4, first 2 shown]
	v_fma_f64 v[8:9], v[26:27], s[4:5], v[36:37]
	v_fma_f64 v[4:5], v[26:27], s[6:7], v[36:37]
	;; [unrolled: 1-line block ×12, first 2 shown]
	v_or_b32_e32 v16, v74, v82
	v_or_b32_e32 v17, v51, v83
	v_lshlrev_b32_e32 v16, 4, v16
	v_lshlrev_b32_e32 v17, 4, v17
	v_add3_u32 v16, 0, v16, v40
	v_add3_u32 v17, 0, v17, v40
	ds_write_b128 v16, v[0:3]
	ds_write_b128 v16, v[8:11] offset:128
	ds_write_b128 v16, v[4:7] offset:256
	ds_write_b128 v17, v[12:15]
	ds_write_b128 v17, v[20:23] offset:128
	ds_write_b128 v17, v[24:27] offset:256
	s_and_saveexec_b32 s1, s0
	s_cbranch_execz .LBB0_20
; %bb.19:
	v_lshrrev_b32_e32 v16, 3, v41
	v_mul_u32_u24_e32 v16, 24, v16
	v_or_b32_e32 v16, v16, v42
	v_lshlrev_b32_e32 v16, 4, v16
	v_add3_u32 v16, 0, v16, v40
	ds_write_b128 v16, v[28:31]
	ds_write_b128 v16, v[32:35] offset:128
	ds_write_b128 v16, v[36:39] offset:256
.LBB0_20:
	s_or_b32 exec_lo, exec_lo, s1
	v_cmp_gt_u32_e64 s0, 24, v52
	s_waitcnt lgkmcnt(0)
	s_barrier
	buffer_gl0_inv
                                        ; implicit-def: $vgpr42_vgpr43
                                        ; implicit-def: $vgpr18_vgpr19
	s_and_saveexec_b32 s1, s0
	s_cbranch_execz .LBB0_22
; %bb.21:
	ds_read_b128 v[0:3], v57
	ds_read_b128 v[8:11], v53 offset:384
	ds_read_b128 v[4:7], v53 offset:768
	;; [unrolled: 1-line block ×10, first 2 shown]
.LBB0_22:
	s_or_b32 exec_lo, exec_lo, s1
	s_waitcnt lgkmcnt(0)
	s_barrier
	buffer_gl0_inv
	s_and_saveexec_b32 s33, s0
	s_cbranch_execz .LBB0_24
; %bb.23:
	v_subrev_nc_u32_e32 v44, 24, v52
	v_mov_b32_e32 v45, 0
	s_mov_b32 s14, 0x43842ef
	s_mov_b32 s4, 0xd9c712b6
	;; [unrolled: 1-line block ×3, first 2 shown]
	v_cndmask_b32_e64 v44, v44, v52, s0
	s_mov_b32 s6, 0x7f775887
	s_mov_b32 s16, 0xbb3a28a1
	;; [unrolled: 1-line block ×4, first 2 shown]
	v_mul_i32_i24_e32 v44, 10, v44
	s_mov_b32 s20, 0xfd768dbf
	s_mov_b32 s15, 0x3fefac9e
	;; [unrolled: 1-line block ×4, first 2 shown]
	v_lshlrev_b64 v[44:45], 4, v[44:45]
	s_mov_b32 s7, 0xbfe4f49e
	s_mov_b32 s17, 0x3fe82f19
	;; [unrolled: 1-line block ×5, first 2 shown]
	v_add_co_u32 v44, s0, s8, v44
	v_add_co_ci_u32_e64 v45, s0, s9, v45, s0
	s_mov_b32 s0, 0x640f44db
	s_mov_b32 s8, 0x8764f0ba
	;; [unrolled: 1-line block ×3, first 2 shown]
	s_clause 0x9
	global_load_dwordx4 v[58:61], v[44:45], off offset:256
	global_load_dwordx4 v[62:65], v[44:45], off offset:400
	;; [unrolled: 1-line block ×10, first 2 shown]
	s_mov_b32 s9, 0x3feaeb8c
	s_mov_b32 s25, 0xbfefac9e
	;; [unrolled: 1-line block ×11, first 2 shown]
	s_waitcnt vmcnt(9)
	v_mul_f64 v[90:91], v[8:9], v[60:61]
	s_waitcnt vmcnt(8)
	v_mul_f64 v[92:93], v[40:41], v[64:65]
	v_mul_f64 v[60:61], v[10:11], v[60:61]
	v_mul_f64 v[64:65], v[42:43], v[64:65]
	s_waitcnt vmcnt(5)
	v_mul_f64 v[98:99], v[12:13], v[76:77]
	s_waitcnt vmcnt(4)
	v_mul_f64 v[100:101], v[36:37], v[80:81]
	v_mul_f64 v[94:95], v[24:25], v[68:69]
	v_mul_f64 v[96:97], v[20:21], v[72:73]
	s_waitcnt vmcnt(3)
	v_mul_f64 v[102:103], v[32:33], v[84:85]
	s_waitcnt vmcnt(2)
	v_mul_f64 v[104:105], v[28:29], v[88:89]
	v_mul_f64 v[68:69], v[26:27], v[68:69]
	v_mul_f64 v[72:73], v[22:23], v[72:73]
	v_mul_f64 v[84:85], v[34:35], v[84:85]
	v_mul_f64 v[88:89], v[30:31], v[88:89]
	;; [unrolled: 1-line block ×4, first 2 shown]
	s_waitcnt vmcnt(1)
	v_mul_f64 v[106:107], v[4:5], v[50:51]
	v_mul_f64 v[108:109], v[6:7], v[50:51]
	s_waitcnt vmcnt(0)
	v_mul_f64 v[110:111], v[16:17], v[46:47]
	v_mul_f64 v[112:113], v[18:19], v[46:47]
	v_fma_f64 v[90:91], v[10:11], v[58:59], v[90:91]
	v_fma_f64 v[10:11], v[42:43], v[62:63], v[92:93]
	;; [unrolled: 1-line block ×4, first 2 shown]
	v_fma_f64 v[38:39], v[8:9], v[58:59], -v[60:61]
	v_fma_f64 v[8:9], v[40:41], v[62:63], -v[64:65]
	v_fma_f64 v[42:43], v[26:27], v[66:67], v[94:95]
	v_fma_f64 v[46:47], v[22:23], v[70:71], v[96:97]
	;; [unrolled: 1-line block ×4, first 2 shown]
	v_fma_f64 v[30:31], v[24:25], v[66:67], -v[68:69]
	v_fma_f64 v[34:35], v[20:21], v[70:71], -v[72:73]
	;; [unrolled: 1-line block ×6, first 2 shown]
	v_fma_f64 v[32:33], v[6:7], v[48:49], v[106:107]
	v_fma_f64 v[36:37], v[4:5], v[48:49], -v[108:109]
	v_fma_f64 v[4:5], v[18:19], v[44:45], v[110:111]
	v_fma_f64 v[6:7], v[16:17], v[44:45], -v[112:113]
	v_add_f64 v[62:63], v[2:3], v[90:91]
	v_add_f64 v[16:17], v[90:91], v[10:11]
	v_add_f64 v[18:19], v[90:91], -v[10:11]
	v_add_f64 v[40:41], v[50:51], v[14:15]
	v_add_f64 v[78:79], v[50:51], -v[14:15]
	v_add_f64 v[58:59], v[38:39], -v[8:9]
	v_add_f64 v[60:61], v[38:39], v[8:9]
	v_add_f64 v[38:39], v[0:1], v[38:39]
	;; [unrolled: 1-line block ×4, first 2 shown]
	v_add_f64 v[82:83], v[46:47], -v[22:23]
	v_add_f64 v[86:87], v[42:43], -v[26:27]
	;; [unrolled: 1-line block ×4, first 2 shown]
	v_add_f64 v[84:85], v[34:35], v[20:21]
	v_add_f64 v[68:69], v[28:29], -v[12:13]
	v_add_f64 v[80:81], v[28:29], v[12:13]
	v_add_f64 v[88:89], v[30:31], v[24:25]
	;; [unrolled: 1-line block ×3, first 2 shown]
	v_add_f64 v[72:73], v[36:37], -v[6:7]
	v_add_f64 v[74:75], v[32:33], -v[4:5]
	v_add_f64 v[76:77], v[36:37], v[6:7]
	v_add_f64 v[32:33], v[62:63], v[32:33]
	v_mul_f64 v[90:91], v[16:17], s[10:11]
	v_mul_f64 v[92:93], v[16:17], s[6:7]
	;; [unrolled: 1-line block ×6, first 2 shown]
	v_add_f64 v[36:37], v[38:39], v[36:37]
	v_mul_f64 v[100:101], v[18:19], s[26:27]
	v_mul_f64 v[102:103], v[18:19], s[24:25]
	;; [unrolled: 1-line block ×14, first 2 shown]
	v_add_f64 v[32:33], v[32:33], v[50:51]
	v_mul_f64 v[124:125], v[44:45], s[0:1]
	v_mul_f64 v[44:45], v[44:45], s[6:7]
	;; [unrolled: 1-line block ×6, first 2 shown]
	v_add_f64 v[28:29], v[36:37], v[28:29]
	v_mul_f64 v[132:133], v[70:71], s[0:1]
	v_mul_f64 v[134:135], v[70:71], s[10:11]
	;; [unrolled: 1-line block ×14, first 2 shown]
	v_add_f64 v[32:33], v[32:33], v[46:47]
	v_mul_f64 v[150:151], v[82:83], s[22:23]
	v_mul_f64 v[152:153], v[82:83], s[28:29]
	;; [unrolled: 1-line block ×6, first 2 shown]
	v_add_f64 v[28:29], v[28:29], v[34:35]
	v_mul_f64 v[160:161], v[86:87], s[22:23]
	v_mul_f64 v[162:163], v[86:87], s[26:27]
	v_mul_f64 v[164:165], v[86:87], s[30:31]
	v_mul_f64 v[86:87], v[86:87], s[28:29]
	v_fma_f64 v[166:167], v[58:59], s[20:21], v[90:91]
	v_fma_f64 v[90:91], v[58:59], s[28:29], v[90:91]
	;; [unrolled: 1-line block ×11, first 2 shown]
	v_fma_f64 v[98:99], v[60:61], s[10:11], -v[98:99]
	v_fma_f64 v[176:177], v[60:61], s[6:7], v[100:101]
	v_fma_f64 v[100:101], v[60:61], s[6:7], -v[100:101]
	v_fma_f64 v[182:183], v[60:61], s[8:9], v[18:19]
	;; [unrolled: 2-line block ×4, first 2 shown]
	v_fma_f64 v[102:103], v[60:61], s[0:1], -v[102:103]
	v_add_f64 v[32:33], v[32:33], v[42:43]
	v_add_f64 v[28:29], v[28:29], v[30:31]
	v_fma_f64 v[60:61], v[64:65], s[12:13], v[108:109]
	v_fma_f64 v[184:185], v[66:67], s[14:15], v[110:111]
	;; [unrolled: 1-line block ×41, first 2 shown]
	v_fma_f64 v[38:39], v[76:77], s[8:9], -v[38:39]
	v_fma_f64 v[70:71], v[76:77], s[0:1], v[62:63]
	v_fma_f64 v[62:63], v[76:77], s[0:1], -v[62:63]
	v_fma_f64 v[72:73], v[76:77], s[10:11], v[138:139]
	;; [unrolled: 2-line block ×19, first 2 shown]
	v_fma_f64 v[42:43], v[88:89], s[10:11], -v[86:87]
	v_add_f64 v[30:31], v[2:3], v[166:167]
	v_add_f64 v[58:59], v[0:1], v[58:59]
	v_add_f64 v[86:87], v[2:3], v[90:91]
	v_add_f64 v[88:89], v[0:1], v[98:99]
	v_add_f64 v[90:91], v[2:3], v[168:169]
	v_add_f64 v[98:99], v[0:1], v[176:177]
	v_add_f64 v[100:101], v[0:1], v[100:101]
	v_add_f64 v[16:17], v[2:3], v[16:17]
	v_add_f64 v[18:19], v[0:1], v[18:19]
	v_add_f64 v[92:93], v[2:3], v[92:93]
	v_add_f64 v[96:97], v[2:3], v[96:97]
	v_add_f64 v[104:105], v[0:1], v[104:105]
	v_add_f64 v[94:95], v[2:3], v[94:95]
	v_add_f64 v[102:103], v[0:1], v[102:103]
	v_add_f64 v[166:167], v[2:3], v[170:171]
	v_add_f64 v[168:169], v[0:1], v[178:179]
	v_add_f64 v[170:171], v[2:3], v[172:173]
	v_add_f64 v[172:173], v[0:1], v[180:181]
	v_add_f64 v[26:27], v[32:33], v[26:27]
	v_add_f64 v[24:25], v[28:29], v[24:25]
	v_add_f64 v[2:3], v[2:3], v[174:175]
	v_add_f64 v[0:1], v[0:1], v[182:183]
	v_add_f64 v[28:29], v[68:69], v[30:31]
	v_add_f64 v[30:31], v[50:51], v[58:59]
	v_add_f64 v[32:33], v[130:131], v[86:87]
	v_add_f64 v[38:39], v[38:39], v[88:89]
	v_add_f64 v[50:51], v[208:209], v[90:91]
	v_add_f64 v[58:59], v[70:71], v[98:99]
	v_add_f64 v[62:63], v[62:63], v[100:101]
	v_add_f64 v[16:17], v[36:37], v[16:17]
	v_add_f64 v[18:19], v[74:75], v[18:19]
	v_add_f64 v[68:69], v[132:133], v[92:93]
	v_add_f64 v[86:87], v[136:137], v[96:97]
	v_add_f64 v[36:37], v[140:141], v[104:105]
	v_add_f64 v[70:71], v[134:135], v[94:95]
	v_add_f64 v[74:75], v[138:139], v[102:103]
	v_add_f64 v[88:89], v[210:211], v[166:167]
	v_add_f64 v[72:73], v[72:73], v[168:169]
	v_add_f64 v[90:91], v[212:213], v[170:171]
	v_add_f64 v[92:93], v[216:217], v[172:173]
	v_add_f64 v[22:23], v[26:27], v[22:23]
	v_add_f64 v[20:21], v[24:25], v[20:21]
	v_add_f64 v[2:3], v[214:215], v[2:3]
	v_add_f64 v[0:1], v[218:219], v[0:1]
	v_add_f64 v[24:25], v[64:65], v[28:29]
	v_add_f64 v[26:27], v[76:77], v[30:31]
	v_add_f64 v[28:29], v[106:107], v[32:33]
	v_add_f64 v[30:31], v[142:143], v[38:39]
	v_add_f64 v[32:33], v[200:201], v[50:51]
	v_add_f64 v[38:39], v[220:221], v[58:59]
	v_add_f64 v[58:59], v[144:145], v[62:63]
	v_add_f64 v[16:17], v[40:41], v[16:17]
	v_add_f64 v[18:19], v[34:35], v[18:19]
	v_add_f64 v[50:51], v[112:113], v[68:69]
	v_add_f64 v[64:65], v[128:129], v[86:87]
	v_add_f64 v[34:35], v[148:149], v[36:37]
	v_add_f64 v[62:63], v[126:127], v[70:71]
	v_add_f64 v[36:37], v[146:147], v[74:75]
	v_add_f64 v[40:41], v[202:203], v[88:89]
	v_add_f64 v[68:69], v[222:223], v[72:73]
	v_add_f64 v[70:71], v[204:205], v[90:91]
	v_add_f64 v[72:73], v[224:225], v[92:93]
	v_add_f64 v[14:15], v[22:23], v[14:15]
	v_add_f64 v[12:13], v[20:21], v[12:13]
	v_add_f64 v[2:3], v[206:207], v[2:3]
	v_add_f64 v[0:1], v[226:227], v[0:1]
	v_add_f64 v[20:21], v[60:61], v[24:25]
	v_add_f64 v[22:23], v[46:47], v[26:27]
	v_add_f64 v[24:25], v[108:109], v[28:29]
	v_add_f64 v[26:27], v[78:79], v[30:31]
	v_add_f64 v[28:29], v[186:187], v[32:33]
	v_add_f64 v[30:31], v[80:81], v[38:39]
	v_add_f64 v[38:39], v[150:151], v[58:59]
	v_add_f64 v[44:45], v[44:45], v[16:17]
	v_add_f64 v[58:59], v[82:83], v[18:19]
	v_add_f64 v[32:33], v[114:115], v[50:51]
	v_add_f64 v[50:51], v[124:125], v[64:65]
	v_add_f64 v[34:35], v[156:157], v[34:35]
	v_add_f64 v[46:47], v[122:123], v[62:63]
	v_add_f64 v[36:37], v[154:155], v[36:37]
	v_add_f64 v[40:41], v[66:67], v[40:41]
	v_add_f64 v[60:61], v[152:153], v[68:69]
	v_add_f64 v[62:63], v[196:197], v[70:71]
	v_add_f64 v[64:65], v[228:229], v[72:73]
	v_add_f64 v[68:69], v[14:15], v[4:5]
	v_add_f64 v[70:71], v[12:13], v[6:7]
	v_add_f64 v[66:67], v[198:199], v[2:3]
	v_add_f64 v[72:73], v[230:231], v[0:1]
	v_add_f64 v[2:3], v[184:185], v[20:21]
	v_add_f64 v[0:1], v[84:85], v[22:23]
	v_add_f64 v[6:7], v[110:111], v[24:25]
	v_add_f64 v[4:5], v[158:159], v[26:27]
	v_add_f64 v[14:15], v[188:189], v[28:29]
	v_add_f64 v[12:13], v[232:233], v[30:31]
	v_add_f64 v[16:17], v[160:161], v[38:39]
	v_add_f64 v[30:31], v[48:49], v[44:45]
	v_add_f64 v[28:29], v[42:43], v[58:59]
	v_add_f64 v[18:19], v[116:117], v[32:33]
	v_add_f64 v[26:27], v[120:121], v[50:51]
	v_add_f64 v[24:25], v[164:165], v[34:35]
	v_add_f64 v[22:23], v[118:119], v[46:47]
	v_add_f64 v[20:21], v[162:163], v[36:37]
	v_add_f64 v[34:35], v[190:191], v[40:41]
	v_add_f64 v[32:33], v[234:235], v[60:61]
	v_add_f64 v[38:39], v[192:193], v[62:63]
	v_add_f64 v[36:37], v[236:237], v[64:65]
	v_add_f64 v[10:11], v[68:69], v[10:11]
	v_add_f64 v[8:9], v[70:71], v[8:9]
	v_add_f64 v[42:43], v[194:195], v[66:67]
	v_add_f64 v[40:41], v[238:239], v[72:73]
	ds_write_b128 v53, v[28:31] offset:384
	ds_write_b128 v53, v[24:27] offset:768
	;; [unrolled: 1-line block ×9, first 2 shown]
	ds_write_b128 v57, v[8:11]
	ds_write_b128 v53, v[40:43] offset:3840
.LBB0_24:
	s_or_b32 exec_lo, exec_lo, s33
	s_waitcnt lgkmcnt(0)
	s_barrier
	buffer_gl0_inv
	s_and_saveexec_b32 s0, vcc_lo
	s_cbranch_execz .LBB0_26
; %bb.25:
	v_lshl_add_u32 v28, v52, 4, v56
	v_mov_b32_e32 v53, 0
	v_add_co_u32 v30, vcc_lo, s2, v54
	v_add_co_ci_u32_e32 v31, vcc_lo, s3, v55, vcc_lo
	ds_read_b128 v[0:3], v28
	v_lshlrev_b64 v[17:18], 4, v[52:53]
	ds_read_b128 v[4:7], v28 offset:528
	ds_read_b128 v[8:11], v28 offset:1056
	v_add_nc_u32_e32 v12, 33, v52
	v_mov_b32_e32 v13, v53
	v_add_nc_u32_e32 v14, 0x42, v52
	v_mov_b32_e32 v15, v53
	v_add_co_u32 v17, vcc_lo, v30, v17
	v_lshlrev_b64 v[12:13], 4, v[12:13]
	v_add_co_ci_u32_e32 v18, vcc_lo, v31, v18, vcc_lo
	v_add_nc_u32_e32 v16, 0x63, v52
	v_lshlrev_b64 v[14:15], 4, v[14:15]
	v_mov_b32_e32 v19, v53
	v_add_co_u32 v12, vcc_lo, v30, v12
	v_add_co_ci_u32_e32 v13, vcc_lo, v31, v13, vcc_lo
	v_add_co_u32 v14, vcc_lo, v30, v14
	s_waitcnt lgkmcnt(2)
	global_store_dwordx4 v[17:18], v[0:3], off
	v_mov_b32_e32 v17, v53
	v_add_nc_u32_e32 v18, 0x84, v52
	s_waitcnt lgkmcnt(1)
	global_store_dwordx4 v[12:13], v[4:7], off
	v_add_co_ci_u32_e32 v15, vcc_lo, v31, v15, vcc_lo
	v_lshlrev_b64 v[16:17], 4, v[16:17]
	v_lshlrev_b64 v[4:5], 4, v[18:19]
	v_add_nc_u32_e32 v12, 0xa5, v52
	v_mov_b32_e32 v13, v53
	s_waitcnt lgkmcnt(0)
	global_store_dwordx4 v[14:15], v[8:11], off
	ds_read_b128 v[0:3], v28 offset:1584
	v_add_co_u32 v20, vcc_lo, v30, v16
	v_add_co_ci_u32_e32 v21, vcc_lo, v31, v17, vcc_lo
	v_add_co_u32 v22, vcc_lo, v30, v4
	v_add_co_ci_u32_e32 v23, vcc_lo, v31, v5, vcc_lo
	ds_read_b128 v[4:7], v28 offset:2112
	ds_read_b128 v[8:11], v28 offset:2640
	v_lshlrev_b64 v[26:27], 4, v[12:13]
	ds_read_b128 v[12:15], v28 offset:3168
	ds_read_b128 v[16:19], v28 offset:3696
	v_add_nc_u32_e32 v24, 0xc6, v52
	v_mov_b32_e32 v25, v53
	v_add_nc_u32_e32 v52, 0xe7, v52
	v_add_co_u32 v26, vcc_lo, v30, v26
	v_lshlrev_b64 v[24:25], 4, v[24:25]
	v_lshlrev_b64 v[28:29], 4, v[52:53]
	v_add_co_ci_u32_e32 v27, vcc_lo, v31, v27, vcc_lo
	v_add_co_u32 v24, vcc_lo, v30, v24
	v_add_co_ci_u32_e32 v25, vcc_lo, v31, v25, vcc_lo
	v_add_co_u32 v28, vcc_lo, v30, v28
	v_add_co_ci_u32_e32 v29, vcc_lo, v31, v29, vcc_lo
	s_waitcnt lgkmcnt(4)
	global_store_dwordx4 v[20:21], v[0:3], off
	s_waitcnt lgkmcnt(3)
	global_store_dwordx4 v[22:23], v[4:7], off
	;; [unrolled: 2-line block ×5, first 2 shown]
.LBB0_26:
	s_endpgm
	.section	.rodata,"a",@progbits
	.p2align	6, 0x0
	.amdhsa_kernel fft_rtc_fwd_len264_factors_8_3_11_wgs_231_tpt_33_dp_ip_CI_unitstride_sbrr_C2R_dirReg
		.amdhsa_group_segment_fixed_size 0
		.amdhsa_private_segment_fixed_size 0
		.amdhsa_kernarg_size 88
		.amdhsa_user_sgpr_count 6
		.amdhsa_user_sgpr_private_segment_buffer 1
		.amdhsa_user_sgpr_dispatch_ptr 0
		.amdhsa_user_sgpr_queue_ptr 0
		.amdhsa_user_sgpr_kernarg_segment_ptr 1
		.amdhsa_user_sgpr_dispatch_id 0
		.amdhsa_user_sgpr_flat_scratch_init 0
		.amdhsa_user_sgpr_private_segment_size 0
		.amdhsa_wavefront_size32 1
		.amdhsa_uses_dynamic_stack 0
		.amdhsa_system_sgpr_private_segment_wavefront_offset 0
		.amdhsa_system_sgpr_workgroup_id_x 1
		.amdhsa_system_sgpr_workgroup_id_y 0
		.amdhsa_system_sgpr_workgroup_id_z 0
		.amdhsa_system_sgpr_workgroup_info 0
		.amdhsa_system_vgpr_workitem_id 0
		.amdhsa_next_free_vgpr 240
		.amdhsa_next_free_sgpr 34
		.amdhsa_reserve_vcc 1
		.amdhsa_reserve_flat_scratch 0
		.amdhsa_float_round_mode_32 0
		.amdhsa_float_round_mode_16_64 0
		.amdhsa_float_denorm_mode_32 3
		.amdhsa_float_denorm_mode_16_64 3
		.amdhsa_dx10_clamp 1
		.amdhsa_ieee_mode 1
		.amdhsa_fp16_overflow 0
		.amdhsa_workgroup_processor_mode 1
		.amdhsa_memory_ordered 1
		.amdhsa_forward_progress 0
		.amdhsa_shared_vgpr_count 0
		.amdhsa_exception_fp_ieee_invalid_op 0
		.amdhsa_exception_fp_denorm_src 0
		.amdhsa_exception_fp_ieee_div_zero 0
		.amdhsa_exception_fp_ieee_overflow 0
		.amdhsa_exception_fp_ieee_underflow 0
		.amdhsa_exception_fp_ieee_inexact 0
		.amdhsa_exception_int_div_zero 0
	.end_amdhsa_kernel
	.text
.Lfunc_end0:
	.size	fft_rtc_fwd_len264_factors_8_3_11_wgs_231_tpt_33_dp_ip_CI_unitstride_sbrr_C2R_dirReg, .Lfunc_end0-fft_rtc_fwd_len264_factors_8_3_11_wgs_231_tpt_33_dp_ip_CI_unitstride_sbrr_C2R_dirReg
                                        ; -- End function
	.section	.AMDGPU.csdata,"",@progbits
; Kernel info:
; codeLenInByte = 7572
; NumSgprs: 36
; NumVgprs: 240
; ScratchSize: 0
; MemoryBound: 0
; FloatMode: 240
; IeeeMode: 1
; LDSByteSize: 0 bytes/workgroup (compile time only)
; SGPRBlocks: 4
; VGPRBlocks: 29
; NumSGPRsForWavesPerEU: 36
; NumVGPRsForWavesPerEU: 240
; Occupancy: 4
; WaveLimiterHint : 1
; COMPUTE_PGM_RSRC2:SCRATCH_EN: 0
; COMPUTE_PGM_RSRC2:USER_SGPR: 6
; COMPUTE_PGM_RSRC2:TRAP_HANDLER: 0
; COMPUTE_PGM_RSRC2:TGID_X_EN: 1
; COMPUTE_PGM_RSRC2:TGID_Y_EN: 0
; COMPUTE_PGM_RSRC2:TGID_Z_EN: 0
; COMPUTE_PGM_RSRC2:TIDIG_COMP_CNT: 0
	.text
	.p2alignl 6, 3214868480
	.fill 48, 4, 3214868480
	.type	__hip_cuid_74cf1fe50b772c89,@object ; @__hip_cuid_74cf1fe50b772c89
	.section	.bss,"aw",@nobits
	.globl	__hip_cuid_74cf1fe50b772c89
__hip_cuid_74cf1fe50b772c89:
	.byte	0                               ; 0x0
	.size	__hip_cuid_74cf1fe50b772c89, 1

	.ident	"AMD clang version 19.0.0git (https://github.com/RadeonOpenCompute/llvm-project roc-6.4.0 25133 c7fe45cf4b819c5991fe208aaa96edf142730f1d)"
	.section	".note.GNU-stack","",@progbits
	.addrsig
	.addrsig_sym __hip_cuid_74cf1fe50b772c89
	.amdgpu_metadata
---
amdhsa.kernels:
  - .args:
      - .actual_access:  read_only
        .address_space:  global
        .offset:         0
        .size:           8
        .value_kind:     global_buffer
      - .offset:         8
        .size:           8
        .value_kind:     by_value
      - .actual_access:  read_only
        .address_space:  global
        .offset:         16
        .size:           8
        .value_kind:     global_buffer
      - .actual_access:  read_only
        .address_space:  global
        .offset:         24
        .size:           8
        .value_kind:     global_buffer
      - .offset:         32
        .size:           8
        .value_kind:     by_value
      - .actual_access:  read_only
        .address_space:  global
        .offset:         40
        .size:           8
        .value_kind:     global_buffer
      - .actual_access:  read_only
        .address_space:  global
        .offset:         48
        .size:           8
        .value_kind:     global_buffer
      - .offset:         56
        .size:           4
        .value_kind:     by_value
      - .actual_access:  read_only
        .address_space:  global
        .offset:         64
        .size:           8
        .value_kind:     global_buffer
      - .actual_access:  read_only
        .address_space:  global
        .offset:         72
        .size:           8
        .value_kind:     global_buffer
      - .address_space:  global
        .offset:         80
        .size:           8
        .value_kind:     global_buffer
    .group_segment_fixed_size: 0
    .kernarg_segment_align: 8
    .kernarg_segment_size: 88
    .language:       OpenCL C
    .language_version:
      - 2
      - 0
    .max_flat_workgroup_size: 231
    .name:           fft_rtc_fwd_len264_factors_8_3_11_wgs_231_tpt_33_dp_ip_CI_unitstride_sbrr_C2R_dirReg
    .private_segment_fixed_size: 0
    .sgpr_count:     36
    .sgpr_spill_count: 0
    .symbol:         fft_rtc_fwd_len264_factors_8_3_11_wgs_231_tpt_33_dp_ip_CI_unitstride_sbrr_C2R_dirReg.kd
    .uniform_work_group_size: 1
    .uses_dynamic_stack: false
    .vgpr_count:     240
    .vgpr_spill_count: 0
    .wavefront_size: 32
    .workgroup_processor_mode: 1
amdhsa.target:   amdgcn-amd-amdhsa--gfx1030
amdhsa.version:
  - 1
  - 2
...

	.end_amdgpu_metadata
